;; amdgpu-corpus repo=llvm/llvm-project kind=harvested arch=n/a opt=n/a
// NOTE: Assertions have been autogenerated by utils/update_mc_test_checks.py UTC_ARGS: --version 5
// RUN: llvm-mc -triple=amdgcn -mcpu=gfx1310 -show-encoding < %s | FileCheck -check-prefix=GFX13 %s
// RUN: llvm-mc -triple=amdgcn -mcpu=gfx1310 -show-encoding < %s | %extract-encodings | llvm-mc -triple=amdgcn -mcpu=gfx1310 -disassemble -show-encoding | FileCheck -check-prefix=GFX13 %s

lds_direct_load v0
// GFX13: ds_direct_load v0 wait_va_vdst:0 wait_vm_vsrc:0 ; encoding: [0x00,0x00,0x10,0xce]

lds_param_load v0, attr0.x
// GFX13: ds_param_load v0, attr0.x wait_va_vdst:0 wait_vm_vsrc:0 ; encoding: [0x00,0x00,0x00,0xce]
